;; amdgpu-corpus repo=ROCm/rocFFT kind=compiled arch=gfx906 opt=O3
	.text
	.amdgcn_target "amdgcn-amd-amdhsa--gfx906"
	.amdhsa_code_object_version 6
	.protected	fft_rtc_fwd_len42_factors_7_6_wgs_252_tpt_7_halfLds_dp_ip_CI_unitstride_sbrr_dirReg ; -- Begin function fft_rtc_fwd_len42_factors_7_6_wgs_252_tpt_7_halfLds_dp_ip_CI_unitstride_sbrr_dirReg
	.globl	fft_rtc_fwd_len42_factors_7_6_wgs_252_tpt_7_halfLds_dp_ip_CI_unitstride_sbrr_dirReg
	.p2align	8
	.type	fft_rtc_fwd_len42_factors_7_6_wgs_252_tpt_7_halfLds_dp_ip_CI_unitstride_sbrr_dirReg,@function
fft_rtc_fwd_len42_factors_7_6_wgs_252_tpt_7_halfLds_dp_ip_CI_unitstride_sbrr_dirReg: ; @fft_rtc_fwd_len42_factors_7_6_wgs_252_tpt_7_halfLds_dp_ip_CI_unitstride_sbrr_dirReg
; %bb.0:
	s_load_dwordx2 s[2:3], s[4:5], 0x50
	s_load_dwordx4 s[8:11], s[4:5], 0x0
	s_load_dwordx2 s[12:13], s[4:5], 0x18
	v_mul_u32_u24_e32 v1, 0x2493, v0
	v_lshrrev_b32_e32 v1, 16, v1
	v_mad_u64_u32 v[8:9], s[0:1], s6, 36, v[1:2]
	v_mov_b32_e32 v3, 0
	s_waitcnt lgkmcnt(0)
	v_cmp_lt_u64_e64 s[0:1], s[10:11], 2
	v_mov_b32_e32 v9, v3
	v_mov_b32_e32 v1, 0
	;; [unrolled: 1-line block ×3, first 2 shown]
	s_and_b64 vcc, exec, s[0:1]
	v_mov_b32_e32 v2, 0
	v_mov_b32_e32 v10, v8
	s_cbranch_vccnz .LBB0_8
; %bb.1:
	s_load_dwordx2 s[0:1], s[4:5], 0x10
	s_add_u32 s6, s12, 8
	s_addc_u32 s7, s13, 0
	v_mov_b32_e32 v1, 0
	v_mov_b32_e32 v5, v8
	s_waitcnt lgkmcnt(0)
	s_add_u32 s16, s0, 8
	s_mov_b64 s[14:15], 1
	v_mov_b32_e32 v2, 0
	s_addc_u32 s17, s1, 0
	v_mov_b32_e32 v6, v9
.LBB0_2:                                ; =>This Inner Loop Header: Depth=1
	s_load_dwordx2 s[18:19], s[16:17], 0x0
                                        ; implicit-def: $vgpr10_vgpr11
	s_waitcnt lgkmcnt(0)
	v_or_b32_e32 v4, s19, v6
	v_cmp_ne_u64_e32 vcc, 0, v[3:4]
	s_and_saveexec_b64 s[0:1], vcc
	s_xor_b64 s[20:21], exec, s[0:1]
	s_cbranch_execz .LBB0_4
; %bb.3:                                ;   in Loop: Header=BB0_2 Depth=1
	v_cvt_f32_u32_e32 v4, s18
	v_cvt_f32_u32_e32 v7, s19
	s_sub_u32 s0, 0, s18
	s_subb_u32 s1, 0, s19
	v_mac_f32_e32 v4, 0x4f800000, v7
	v_rcp_f32_e32 v4, v4
	v_mul_f32_e32 v4, 0x5f7ffffc, v4
	v_mul_f32_e32 v7, 0x2f800000, v4
	v_trunc_f32_e32 v7, v7
	v_mac_f32_e32 v4, 0xcf800000, v7
	v_cvt_u32_f32_e32 v7, v7
	v_cvt_u32_f32_e32 v4, v4
	v_mul_lo_u32 v9, s0, v7
	v_mul_hi_u32 v10, s0, v4
	v_mul_lo_u32 v12, s1, v4
	v_mul_lo_u32 v11, s0, v4
	v_add_u32_e32 v9, v10, v9
	v_add_u32_e32 v9, v9, v12
	v_mul_hi_u32 v10, v4, v11
	v_mul_lo_u32 v12, v4, v9
	v_mul_hi_u32 v14, v4, v9
	v_mul_hi_u32 v13, v7, v11
	v_mul_lo_u32 v11, v7, v11
	v_mul_hi_u32 v15, v7, v9
	v_add_co_u32_e32 v10, vcc, v10, v12
	v_addc_co_u32_e32 v12, vcc, 0, v14, vcc
	v_mul_lo_u32 v9, v7, v9
	v_add_co_u32_e32 v10, vcc, v10, v11
	v_addc_co_u32_e32 v10, vcc, v12, v13, vcc
	v_addc_co_u32_e32 v11, vcc, 0, v15, vcc
	v_add_co_u32_e32 v9, vcc, v10, v9
	v_addc_co_u32_e32 v10, vcc, 0, v11, vcc
	v_add_co_u32_e32 v4, vcc, v4, v9
	v_addc_co_u32_e32 v7, vcc, v7, v10, vcc
	v_mul_lo_u32 v9, s0, v7
	v_mul_hi_u32 v10, s0, v4
	v_mul_lo_u32 v11, s1, v4
	v_mul_lo_u32 v12, s0, v4
	v_add_u32_e32 v9, v10, v9
	v_add_u32_e32 v9, v9, v11
	v_mul_lo_u32 v13, v4, v9
	v_mul_hi_u32 v14, v4, v12
	v_mul_hi_u32 v15, v4, v9
	;; [unrolled: 1-line block ×3, first 2 shown]
	v_mul_lo_u32 v12, v7, v12
	v_mul_hi_u32 v10, v7, v9
	v_add_co_u32_e32 v13, vcc, v14, v13
	v_addc_co_u32_e32 v14, vcc, 0, v15, vcc
	v_mul_lo_u32 v9, v7, v9
	v_add_co_u32_e32 v12, vcc, v13, v12
	v_addc_co_u32_e32 v11, vcc, v14, v11, vcc
	v_addc_co_u32_e32 v10, vcc, 0, v10, vcc
	v_add_co_u32_e32 v9, vcc, v11, v9
	v_addc_co_u32_e32 v10, vcc, 0, v10, vcc
	v_add_co_u32_e32 v4, vcc, v4, v9
	v_addc_co_u32_e32 v7, vcc, v7, v10, vcc
	v_mad_u64_u32 v[9:10], s[0:1], v5, v7, 0
	v_mul_hi_u32 v11, v5, v4
	v_add_co_u32_e32 v13, vcc, v11, v9
	v_addc_co_u32_e32 v14, vcc, 0, v10, vcc
	v_mad_u64_u32 v[9:10], s[0:1], v6, v4, 0
	v_mad_u64_u32 v[11:12], s[0:1], v6, v7, 0
	v_add_co_u32_e32 v4, vcc, v13, v9
	v_addc_co_u32_e32 v4, vcc, v14, v10, vcc
	v_addc_co_u32_e32 v7, vcc, 0, v12, vcc
	v_add_co_u32_e32 v4, vcc, v4, v11
	v_addc_co_u32_e32 v7, vcc, 0, v7, vcc
	v_mul_lo_u32 v11, s19, v4
	v_mul_lo_u32 v12, s18, v7
	v_mad_u64_u32 v[9:10], s[0:1], s18, v4, 0
	v_add3_u32 v10, v10, v12, v11
	v_sub_u32_e32 v11, v6, v10
	v_mov_b32_e32 v12, s19
	v_sub_co_u32_e32 v9, vcc, v5, v9
	v_subb_co_u32_e64 v11, s[0:1], v11, v12, vcc
	v_subrev_co_u32_e64 v12, s[0:1], s18, v9
	v_subbrev_co_u32_e64 v11, s[0:1], 0, v11, s[0:1]
	v_cmp_le_u32_e64 s[0:1], s19, v11
	v_cndmask_b32_e64 v13, 0, -1, s[0:1]
	v_cmp_le_u32_e64 s[0:1], s18, v12
	v_cndmask_b32_e64 v12, 0, -1, s[0:1]
	v_cmp_eq_u32_e64 s[0:1], s19, v11
	v_cndmask_b32_e64 v11, v13, v12, s[0:1]
	v_add_co_u32_e64 v12, s[0:1], 2, v4
	v_addc_co_u32_e64 v13, s[0:1], 0, v7, s[0:1]
	v_add_co_u32_e64 v14, s[0:1], 1, v4
	v_addc_co_u32_e64 v15, s[0:1], 0, v7, s[0:1]
	v_subb_co_u32_e32 v10, vcc, v6, v10, vcc
	v_cmp_ne_u32_e64 s[0:1], 0, v11
	v_cmp_le_u32_e32 vcc, s19, v10
	v_cndmask_b32_e64 v11, v15, v13, s[0:1]
	v_cndmask_b32_e64 v13, 0, -1, vcc
	v_cmp_le_u32_e32 vcc, s18, v9
	v_cndmask_b32_e64 v9, 0, -1, vcc
	v_cmp_eq_u32_e32 vcc, s19, v10
	v_cndmask_b32_e32 v9, v13, v9, vcc
	v_cmp_ne_u32_e32 vcc, 0, v9
	v_cndmask_b32_e32 v11, v7, v11, vcc
	v_cndmask_b32_e64 v7, v14, v12, s[0:1]
	v_cndmask_b32_e32 v10, v4, v7, vcc
.LBB0_4:                                ;   in Loop: Header=BB0_2 Depth=1
	s_andn2_saveexec_b64 s[0:1], s[20:21]
	s_cbranch_execz .LBB0_6
; %bb.5:                                ;   in Loop: Header=BB0_2 Depth=1
	v_cvt_f32_u32_e32 v4, s18
	s_sub_i32 s20, 0, s18
	v_mov_b32_e32 v11, v3
	v_rcp_iflag_f32_e32 v4, v4
	v_mul_f32_e32 v4, 0x4f7ffffe, v4
	v_cvt_u32_f32_e32 v4, v4
	v_mul_lo_u32 v7, s20, v4
	v_mul_hi_u32 v7, v4, v7
	v_add_u32_e32 v4, v4, v7
	v_mul_hi_u32 v4, v5, v4
	v_mul_lo_u32 v7, v4, s18
	v_add_u32_e32 v9, 1, v4
	v_sub_u32_e32 v7, v5, v7
	v_subrev_u32_e32 v10, s18, v7
	v_cmp_le_u32_e32 vcc, s18, v7
	v_cndmask_b32_e32 v7, v7, v10, vcc
	v_cndmask_b32_e32 v4, v4, v9, vcc
	v_add_u32_e32 v9, 1, v4
	v_cmp_le_u32_e32 vcc, s18, v7
	v_cndmask_b32_e32 v10, v4, v9, vcc
.LBB0_6:                                ;   in Loop: Header=BB0_2 Depth=1
	s_or_b64 exec, exec, s[0:1]
	v_mul_lo_u32 v4, v11, s18
	v_mul_lo_u32 v7, v10, s19
	v_mad_u64_u32 v[12:13], s[0:1], v10, s18, 0
	s_load_dwordx2 s[0:1], s[6:7], 0x0
	s_add_u32 s14, s14, 1
	v_add3_u32 v4, v13, v7, v4
	v_sub_co_u32_e32 v5, vcc, v5, v12
	v_subb_co_u32_e32 v4, vcc, v6, v4, vcc
	s_waitcnt lgkmcnt(0)
	v_mul_lo_u32 v4, s0, v4
	v_mul_lo_u32 v6, s1, v5
	v_mad_u64_u32 v[1:2], s[0:1], s0, v5, v[1:2]
	s_addc_u32 s15, s15, 0
	s_add_u32 s6, s6, 8
	v_add3_u32 v2, v6, v2, v4
	v_mov_b32_e32 v4, s10
	v_mov_b32_e32 v5, s11
	s_addc_u32 s7, s7, 0
	v_cmp_ge_u64_e32 vcc, s[14:15], v[4:5]
	s_add_u32 s16, s16, 8
	s_addc_u32 s17, s17, 0
	s_cbranch_vccnz .LBB0_8
; %bb.7:                                ;   in Loop: Header=BB0_2 Depth=1
	v_mov_b32_e32 v5, v10
	v_mov_b32_e32 v6, v11
	s_branch .LBB0_2
.LBB0_8:
	s_lshl_b64 s[0:1], s[10:11], 3
	s_add_u32 s0, s12, s0
	s_addc_u32 s1, s13, s1
	s_load_dwordx2 s[6:7], s[0:1], 0x0
	s_load_dwordx2 s[10:11], s[4:5], 0x20
	v_mov_b32_e32 v38, 0
	v_mov_b32_e32 v39, 0
                                        ; implicit-def: $vgpr34_vgpr35
                                        ; implicit-def: $vgpr30_vgpr31
                                        ; implicit-def: $vgpr26_vgpr27
                                        ; implicit-def: $vgpr18_vgpr19
                                        ; implicit-def: $vgpr22_vgpr23
                                        ; implicit-def: $vgpr6_vgpr7
	s_waitcnt lgkmcnt(0)
	v_mad_u64_u32 v[36:37], s[0:1], s6, v10, v[1:2]
	s_mov_b32 s0, 0x24924925
	v_mul_hi_u32 v1, v0, s0
	v_mul_lo_u32 v3, s6, v11
	v_mul_lo_u32 v4, s7, v10
	v_cmp_gt_u64_e32 vcc, s[10:11], v[10:11]
	v_mul_u32_u24_e32 v1, 7, v1
	v_sub_u32_e32 v40, v0, v1
	v_add3_u32 v37, v4, v37, v3
                                        ; implicit-def: $vgpr2_vgpr3
	s_and_saveexec_b64 s[4:5], vcc
	s_cbranch_execz .LBB0_12
; %bb.9:
	v_mov_b32_e32 v38, 6
	v_cmp_gt_u32_e64 s[0:1], 6, v40
	v_mov_b32_e32 v39, 0
	v_mov_b32_e32 v9, 6
                                        ; implicit-def: $vgpr0_vgpr1
                                        ; implicit-def: $vgpr4_vgpr5
                                        ; implicit-def: $vgpr20_vgpr21
                                        ; implicit-def: $vgpr16_vgpr17
                                        ; implicit-def: $vgpr24_vgpr25
                                        ; implicit-def: $vgpr28_vgpr29
                                        ; implicit-def: $vgpr32_vgpr33
	s_and_saveexec_b64 s[6:7], s[0:1]
	s_cbranch_execz .LBB0_11
; %bb.10:
	v_lshlrev_b64 v[0:1], 4, v[36:37]
	v_mov_b32_e32 v41, 0
	v_mov_b32_e32 v2, s3
	v_add_co_u32_e64 v3, s[0:1], s2, v0
	v_addc_co_u32_e64 v2, s[0:1], v2, v1, s[0:1]
	v_lshlrev_b64 v[0:1], 4, v[40:41]
	v_mov_b32_e32 v38, v40
	v_add_co_u32_e64 v9, s[0:1], v3, v0
	v_addc_co_u32_e64 v10, s[0:1], v2, v1, s[0:1]
	global_load_dwordx4 v[0:3], v[9:10], off
	global_load_dwordx4 v[4:7], v[9:10], off offset:96
	global_load_dwordx4 v[20:23], v[9:10], off offset:192
	;; [unrolled: 1-line block ×6, first 2 shown]
	v_mov_b32_e32 v39, v41
	v_mov_b32_e32 v9, v40
.LBB0_11:
	s_or_b64 exec, exec, s[6:7]
	v_mov_b32_e32 v40, v9
.LBB0_12:
	s_or_b64 exec, exec, s[4:5]
	s_mov_b32 s0, 0x38e38e39
	v_mul_hi_u32 v9, v8, s0
	v_cmp_gt_u32_e64 s[0:1], 6, v40
	v_lshrrev_b32_e32 v9, 3, v9
	v_mul_lo_u32 v9, v9, 36
	v_sub_u32_e32 v8, v8, v9
	v_mul_u32_u24_e32 v8, 42, v8
	v_lshlrev_b32_e32 v43, 3, v8
	s_and_saveexec_b64 s[4:5], s[0:1]
	s_cbranch_execz .LBB0_14
; %bb.13:
	s_waitcnt vmcnt(0)
	v_add_f64 v[8:9], v[32:33], v[4:5]
	v_add_f64 v[10:11], v[28:29], v[20:21]
	;; [unrolled: 1-line block ×3, first 2 shown]
	v_add_f64 v[14:15], v[26:27], -v[18:19]
	v_add_f64 v[41:42], v[22:23], -v[30:31]
	;; [unrolled: 1-line block ×3, first 2 shown]
	s_mov_b32 s12, 0x37e14327
	s_mov_b32 s13, 0x3fe948f6
	;; [unrolled: 1-line block ×3, first 2 shown]
	v_add_f64 v[44:45], v[10:11], v[8:9]
	v_add_f64 v[50:51], v[8:9], -v[12:13]
	s_mov_b32 s10, 0x36b3c0b5
	v_add_f64 v[48:49], v[14:15], -v[41:42]
	v_add_f64 v[52:53], v[14:15], v[41:42]
	v_add_f64 v[41:42], v[41:42], -v[46:47]
	s_mov_b32 s15, 0xbfe11646
	s_mov_b32 s11, 0x3fac98ee
	v_add_f64 v[44:45], v[12:13], v[44:45]
	v_add_f64 v[12:13], v[12:13], -v[10:11]
	v_mul_f64 v[50:51], v[50:51], s[12:13]
	s_mov_b32 s12, 0x429ad128
	v_add_f64 v[14:15], v[46:47], -v[14:15]
	v_mul_f64 v[48:49], v[48:49], s[14:15]
	s_mov_b32 s13, 0x3febfeb5
	v_add_f64 v[8:9], v[10:11], -v[8:9]
	v_add_f64 v[0:1], v[0:1], v[44:45]
	v_add_f64 v[46:47], v[52:53], v[46:47]
	v_mul_f64 v[52:53], v[41:42], s[12:13]
	v_fma_f64 v[10:11], v[12:13], s[10:11], v[50:51]
	v_mul_f64 v[12:13], v[12:13], s[10:11]
	s_mov_b32 s6, 0xaaaaaaaa
	s_mov_b32 s7, 0xbff2aaaa
	;; [unrolled: 1-line block ×4, first 2 shown]
	v_fma_f64 v[44:45], v[44:45], s[6:7], v[0:1]
	s_mov_b32 s7, 0xbfe77f67
	s_mov_b32 s6, 0x5476071b
	v_fma_f64 v[54:55], v[14:15], s[16:17], v[48:49]
	v_fma_f64 v[41:42], v[41:42], s[12:13], -v[48:49]
	s_mov_b32 s17, 0xbfd5d0dc
	v_fma_f64 v[48:49], v[8:9], s[6:7], -v[50:51]
	s_mov_b32 s7, 0x3fe77f67
	v_fma_f64 v[14:15], v[14:15], s[16:17], -v[52:53]
	v_fma_f64 v[8:9], v[8:9], s[6:7], -v[12:13]
	s_mov_b32 s6, 0x37c3f68c
	s_mov_b32 s7, 0x3fdc38aa
	v_fma_f64 v[12:13], v[46:47], s[6:7], v[54:55]
	v_add_f64 v[10:11], v[10:11], v[44:45]
	v_fma_f64 v[41:42], v[46:47], s[6:7], v[41:42]
	v_fma_f64 v[14:15], v[46:47], s[6:7], v[14:15]
	v_add_f64 v[8:9], v[8:9], v[44:45]
	v_add_f64 v[44:45], v[48:49], v[44:45]
	;; [unrolled: 1-line block ×3, first 2 shown]
	v_add_f64 v[10:11], v[10:11], -v[12:13]
	v_mul_u32_u24_e32 v12, 56, v40
	v_add3_u32 v12, 0, v12, v43
	v_add_f64 v[48:49], v[8:9], -v[41:42]
	v_add_f64 v[50:51], v[14:15], v[44:45]
	v_add_f64 v[14:15], v[44:45], -v[14:15]
	v_add_f64 v[8:9], v[41:42], v[8:9]
	ds_write2_b64 v12, v[0:1], v[46:47] offset1:1
	ds_write2_b64 v12, v[50:51], v[48:49] offset0:2 offset1:3
	ds_write2_b64 v12, v[8:9], v[14:15] offset0:4 offset1:5
	ds_write_b64 v12, v[10:11] offset:48
.LBB0_14:
	s_or_b64 exec, exec, s[4:5]
	s_waitcnt vmcnt(6)
	v_lshlrev_b32_e32 v0, 3, v40
	v_add_u32_e32 v46, 0, v0
	v_add_u32_e32 v44, v46, v43
	s_waitcnt vmcnt(0) lgkmcnt(0)
	s_barrier
	v_add3_u32 v45, 0, v43, v0
	ds_read2_b64 v[8:11], v44 offset0:7 offset1:14
	ds_read2_b64 v[12:15], v44 offset0:21 offset1:28
	ds_read_b64 v[0:1], v45
	ds_read_b64 v[41:42], v44 offset:280
	s_waitcnt lgkmcnt(0)
	s_barrier
	s_and_saveexec_b64 s[4:5], s[0:1]
	s_cbranch_execz .LBB0_16
; %bb.15:
	v_add_f64 v[6:7], v[34:35], v[6:7]
	v_add_f64 v[22:23], v[30:31], v[22:23]
	;; [unrolled: 1-line block ×3, first 2 shown]
	v_add_f64 v[16:17], v[24:25], -v[16:17]
	v_add_f64 v[20:21], v[20:21], -v[28:29]
	;; [unrolled: 1-line block ×3, first 2 shown]
	s_mov_b32 s6, 0x36b3c0b5
	s_mov_b32 s0, 0x37e14327
	;; [unrolled: 1-line block ×3, first 2 shown]
	v_add_f64 v[24:25], v[22:23], v[6:7]
	v_add_f64 v[26:27], v[6:7], -v[18:19]
	s_mov_b32 s1, 0x3fe948f6
	v_add_f64 v[28:29], v[16:17], v[20:21]
	v_add_f64 v[30:31], v[16:17], -v[20:21]
	v_add_f64 v[20:21], v[20:21], -v[4:5]
	s_mov_b32 s10, 0xe976ee23
	v_add_f64 v[6:7], v[22:23], -v[6:7]
	v_add_f64 v[24:25], v[18:19], v[24:25]
	v_add_f64 v[18:19], v[18:19], -v[22:23]
	s_mov_b32 s11, 0xbfe11646
	s_mov_b32 s12, 0x429ad128
	v_mul_f64 v[26:27], v[26:27], s[0:1]
	s_mov_b32 s13, 0x3febfeb5
	v_add_f64 v[16:17], v[4:5], -v[16:17]
	v_add_f64 v[4:5], v[28:29], v[4:5]
	v_add_f64 v[2:3], v[2:3], v[24:25]
	v_mul_f64 v[22:23], v[18:19], s[6:7]
	v_mul_f64 v[28:29], v[30:31], s[10:11]
	v_mul_f64 v[30:31], v[20:21], s[12:13]
	s_mov_b32 s1, 0x3fe77f67
	s_mov_b32 s0, 0x5476071b
	;; [unrolled: 1-line block ×4, first 2 shown]
	v_fma_f64 v[18:19], v[18:19], s[6:7], v[26:27]
	v_fma_f64 v[22:23], v[6:7], s[0:1], -v[22:23]
	s_mov_b32 s1, 0xbfe77f67
	v_fma_f64 v[6:7], v[6:7], s[0:1], -v[26:27]
	s_mov_b32 s1, 0x3fd5d0dc
	s_mov_b32 s0, 0xb247c609
	v_fma_f64 v[24:25], v[24:25], s[14:15], v[2:3]
	v_fma_f64 v[26:27], v[16:17], s[0:1], v[28:29]
	s_mov_b32 s1, 0xbfd5d0dc
	v_fma_f64 v[16:17], v[16:17], s[0:1], -v[30:31]
	v_fma_f64 v[20:21], v[20:21], s[12:13], -v[28:29]
	s_mov_b32 s0, 0x37c3f68c
	s_mov_b32 s1, 0x3fdc38aa
	v_add_f64 v[18:19], v[18:19], v[24:25]
	v_add_f64 v[22:23], v[22:23], v[24:25]
	v_add_f64 v[6:7], v[6:7], v[24:25]
	v_fma_f64 v[24:25], v[4:5], s[0:1], v[26:27]
	v_fma_f64 v[16:17], v[4:5], s[0:1], v[16:17]
	;; [unrolled: 1-line block ×3, first 2 shown]
	v_add_f64 v[20:21], v[18:19], -v[24:25]
	v_add_f64 v[26:27], v[6:7], -v[16:17]
	v_add_f64 v[28:29], v[4:5], v[22:23]
	v_add_f64 v[4:5], v[22:23], -v[4:5]
	v_add_f64 v[6:7], v[16:17], v[6:7]
	v_add_f64 v[16:17], v[24:25], v[18:19]
	v_mul_u32_u24_e32 v18, 48, v40
	v_add3_u32 v18, v46, v18, v43
	ds_write2_b64 v18, v[2:3], v[20:21] offset1:1
	ds_write2_b64 v18, v[26:27], v[28:29] offset0:2 offset1:3
	ds_write2_b64 v18, v[4:5], v[6:7] offset0:4 offset1:5
	ds_write_b64 v18, v[16:17] offset:48
.LBB0_16:
	s_or_b64 exec, exec, s[4:5]
	s_waitcnt lgkmcnt(0)
	s_barrier
	s_and_saveexec_b64 s[0:1], vcc
	s_cbranch_execz .LBB0_18
; %bb.17:
	v_mul_u32_u24_e32 v2, 5, v40
	v_lshlrev_b32_e32 v6, 4, v2
	global_load_dwordx4 v[2:5], v6, s[8:9] offset:16
	global_load_dwordx4 v[16:19], v6, s[8:9] offset:48
	;; [unrolled: 1-line block ×4, first 2 shown]
	global_load_dwordx4 v[28:31], v6, s[8:9]
	ds_read2_b64 v[32:35], v44 offset0:7 offset1:14
	ds_read2_b64 v[46:49], v44 offset0:21 offset1:28
	ds_read_b64 v[6:7], v45
	ds_read_b64 v[43:44], v44 offset:280
	v_lshlrev_b64 v[36:37], 4, v[36:37]
	v_mov_b32_e32 v40, s3
	s_mov_b32 s0, 0xe8584caa
	s_mov_b32 s1, 0x3febb67a
	;; [unrolled: 1-line block ×4, first 2 shown]
	s_waitcnt vmcnt(4) lgkmcnt(3)
	v_mul_f64 v[50:51], v[34:35], v[4:5]
	v_mul_f64 v[4:5], v[10:11], v[4:5]
	s_waitcnt vmcnt(3) lgkmcnt(2)
	v_mul_f64 v[52:53], v[48:49], v[18:19]
	v_mul_f64 v[18:19], v[14:15], v[18:19]
	s_waitcnt vmcnt(2)
	v_mul_f64 v[54:55], v[46:47], v[22:23]
	v_fma_f64 v[10:11], v[10:11], v[2:3], -v[50:51]
	v_fma_f64 v[2:3], v[2:3], v[34:35], v[4:5]
	v_mul_f64 v[4:5], v[12:13], v[22:23]
	s_waitcnt vmcnt(1)
	v_mul_f64 v[22:23], v[41:42], v[26:27]
	v_fma_f64 v[14:15], v[14:15], v[16:17], -v[52:53]
	v_fma_f64 v[16:17], v[16:17], v[48:49], v[18:19]
	s_waitcnt lgkmcnt(0)
	v_mul_f64 v[18:19], v[43:44], v[26:27]
	s_waitcnt vmcnt(0)
	v_mul_f64 v[34:35], v[32:33], v[30:31]
	v_fma_f64 v[12:13], v[12:13], v[20:21], -v[54:55]
	v_mul_f64 v[30:31], v[8:9], v[30:31]
	v_fma_f64 v[4:5], v[20:21], v[46:47], v[4:5]
	v_fma_f64 v[20:21], v[24:25], v[43:44], v[22:23]
	v_lshlrev_b64 v[26:27], 4, v[38:39]
	v_add_f64 v[38:39], v[2:3], v[6:7]
	v_fma_f64 v[18:19], v[41:42], v[24:25], -v[18:19]
	v_fma_f64 v[8:9], v[8:9], v[28:29], -v[34:35]
	v_add_co_u32_e32 v41, vcc, s2, v36
	v_fma_f64 v[22:23], v[28:29], v[32:33], v[30:31]
	v_add_f64 v[24:25], v[4:5], v[20:21]
	v_addc_co_u32_e32 v40, vcc, v40, v37, vcc
	v_add_f64 v[28:29], v[12:13], v[18:19]
	v_add_f64 v[32:33], v[2:3], v[16:17]
	v_add_f64 v[34:35], v[4:5], -v[20:21]
	v_add_f64 v[36:37], v[12:13], -v[18:19]
	v_add_f64 v[4:5], v[22:23], v[4:5]
	v_fma_f64 v[22:23], v[24:25], -0.5, v[22:23]
	v_add_f64 v[2:3], v[2:3], -v[16:17]
	v_add_f64 v[30:31], v[10:11], -v[14:15]
	v_fma_f64 v[24:25], v[28:29], -0.5, v[8:9]
	v_add_f64 v[28:29], v[10:11], v[14:15]
	v_add_f64 v[8:9], v[8:9], v[12:13]
	v_fma_f64 v[6:7], v[32:33], -0.5, v[6:7]
	v_add_f64 v[12:13], v[38:39], v[16:17]
	v_fma_f64 v[16:17], v[36:37], s[0:1], v[22:23]
	v_fma_f64 v[22:23], v[36:37], s[4:5], v[22:23]
	v_add_f64 v[10:11], v[0:1], v[10:11]
	v_fma_f64 v[32:33], v[34:35], s[0:1], v[24:25]
	v_fma_f64 v[24:25], v[34:35], s[4:5], v[24:25]
	v_add_f64 v[4:5], v[4:5], v[20:21]
	v_fma_f64 v[0:1], v[28:29], -0.5, v[0:1]
	v_add_f64 v[8:9], v[8:9], v[18:19]
	v_fma_f64 v[34:35], v[30:31], s[0:1], v[6:7]
	v_mul_f64 v[28:29], v[22:23], s[0:1]
	v_add_f64 v[10:11], v[10:11], v[14:15]
	v_mul_f64 v[18:19], v[32:33], s[4:5]
	v_mul_f64 v[20:21], v[24:25], -0.5
	v_mul_f64 v[14:15], v[16:17], -0.5
	v_fma_f64 v[30:31], v[30:31], s[4:5], v[6:7]
	v_fma_f64 v[38:39], v[2:3], s[0:1], v[0:1]
	;; [unrolled: 1-line block ×3, first 2 shown]
	v_add_f64 v[2:3], v[12:13], -v[4:5]
	v_add_f64 v[6:7], v[12:13], v[4:5]
	v_fma_f64 v[22:23], v[22:23], 0.5, v[18:19]
	v_fma_f64 v[16:17], v[16:17], s[0:1], v[20:21]
	v_fma_f64 v[20:21], v[32:33], 0.5, v[28:29]
	v_fma_f64 v[24:25], v[24:25], s[4:5], v[14:15]
	v_add_f64 v[4:5], v[10:11], v[8:9]
	v_add_f64 v[0:1], v[10:11], -v[8:9]
	v_add_f64 v[14:15], v[30:31], -v[22:23]
	v_add_f64 v[22:23], v[30:31], v[22:23]
	v_add_f64 v[12:13], v[38:39], -v[20:21]
	v_add_f64 v[20:21], v[38:39], v[20:21]
	;; [unrolled: 2-line block ×3, first 2 shown]
	v_add_f64 v[16:17], v[36:37], v[16:17]
	v_add_f64 v[10:11], v[34:35], -v[24:25]
	v_add_co_u32_e32 v24, vcc, v41, v26
	v_addc_co_u32_e32 v25, vcc, v40, v27, vcc
	global_store_dwordx4 v[24:25], v[4:7], off
	global_store_dwordx4 v[24:25], v[0:3], off offset:336
	global_store_dwordx4 v[24:25], v[20:23], off offset:112
	;; [unrolled: 1-line block ×5, first 2 shown]
.LBB0_18:
	s_endpgm
	.section	.rodata,"a",@progbits
	.p2align	6, 0x0
	.amdhsa_kernel fft_rtc_fwd_len42_factors_7_6_wgs_252_tpt_7_halfLds_dp_ip_CI_unitstride_sbrr_dirReg
		.amdhsa_group_segment_fixed_size 0
		.amdhsa_private_segment_fixed_size 0
		.amdhsa_kernarg_size 88
		.amdhsa_user_sgpr_count 6
		.amdhsa_user_sgpr_private_segment_buffer 1
		.amdhsa_user_sgpr_dispatch_ptr 0
		.amdhsa_user_sgpr_queue_ptr 0
		.amdhsa_user_sgpr_kernarg_segment_ptr 1
		.amdhsa_user_sgpr_dispatch_id 0
		.amdhsa_user_sgpr_flat_scratch_init 0
		.amdhsa_user_sgpr_private_segment_size 0
		.amdhsa_uses_dynamic_stack 0
		.amdhsa_system_sgpr_private_segment_wavefront_offset 0
		.amdhsa_system_sgpr_workgroup_id_x 1
		.amdhsa_system_sgpr_workgroup_id_y 0
		.amdhsa_system_sgpr_workgroup_id_z 0
		.amdhsa_system_sgpr_workgroup_info 0
		.amdhsa_system_vgpr_workitem_id 0
		.amdhsa_next_free_vgpr 56
		.amdhsa_next_free_sgpr 22
		.amdhsa_reserve_vcc 1
		.amdhsa_reserve_flat_scratch 0
		.amdhsa_float_round_mode_32 0
		.amdhsa_float_round_mode_16_64 0
		.amdhsa_float_denorm_mode_32 3
		.amdhsa_float_denorm_mode_16_64 3
		.amdhsa_dx10_clamp 1
		.amdhsa_ieee_mode 1
		.amdhsa_fp16_overflow 0
		.amdhsa_exception_fp_ieee_invalid_op 0
		.amdhsa_exception_fp_denorm_src 0
		.amdhsa_exception_fp_ieee_div_zero 0
		.amdhsa_exception_fp_ieee_overflow 0
		.amdhsa_exception_fp_ieee_underflow 0
		.amdhsa_exception_fp_ieee_inexact 0
		.amdhsa_exception_int_div_zero 0
	.end_amdhsa_kernel
	.text
.Lfunc_end0:
	.size	fft_rtc_fwd_len42_factors_7_6_wgs_252_tpt_7_halfLds_dp_ip_CI_unitstride_sbrr_dirReg, .Lfunc_end0-fft_rtc_fwd_len42_factors_7_6_wgs_252_tpt_7_halfLds_dp_ip_CI_unitstride_sbrr_dirReg
                                        ; -- End function
	.section	.AMDGPU.csdata,"",@progbits
; Kernel info:
; codeLenInByte = 3240
; NumSgprs: 26
; NumVgprs: 56
; ScratchSize: 0
; MemoryBound: 1
; FloatMode: 240
; IeeeMode: 1
; LDSByteSize: 0 bytes/workgroup (compile time only)
; SGPRBlocks: 3
; VGPRBlocks: 13
; NumSGPRsForWavesPerEU: 26
; NumVGPRsForWavesPerEU: 56
; Occupancy: 4
; WaveLimiterHint : 1
; COMPUTE_PGM_RSRC2:SCRATCH_EN: 0
; COMPUTE_PGM_RSRC2:USER_SGPR: 6
; COMPUTE_PGM_RSRC2:TRAP_HANDLER: 0
; COMPUTE_PGM_RSRC2:TGID_X_EN: 1
; COMPUTE_PGM_RSRC2:TGID_Y_EN: 0
; COMPUTE_PGM_RSRC2:TGID_Z_EN: 0
; COMPUTE_PGM_RSRC2:TIDIG_COMP_CNT: 0
	.type	__hip_cuid_1f057b0388bc2ce8,@object ; @__hip_cuid_1f057b0388bc2ce8
	.section	.bss,"aw",@nobits
	.globl	__hip_cuid_1f057b0388bc2ce8
__hip_cuid_1f057b0388bc2ce8:
	.byte	0                               ; 0x0
	.size	__hip_cuid_1f057b0388bc2ce8, 1

	.ident	"AMD clang version 19.0.0git (https://github.com/RadeonOpenCompute/llvm-project roc-6.4.0 25133 c7fe45cf4b819c5991fe208aaa96edf142730f1d)"
	.section	".note.GNU-stack","",@progbits
	.addrsig
	.addrsig_sym __hip_cuid_1f057b0388bc2ce8
	.amdgpu_metadata
---
amdhsa.kernels:
  - .args:
      - .actual_access:  read_only
        .address_space:  global
        .offset:         0
        .size:           8
        .value_kind:     global_buffer
      - .offset:         8
        .size:           8
        .value_kind:     by_value
      - .actual_access:  read_only
        .address_space:  global
        .offset:         16
        .size:           8
        .value_kind:     global_buffer
      - .actual_access:  read_only
        .address_space:  global
        .offset:         24
        .size:           8
        .value_kind:     global_buffer
      - .offset:         32
        .size:           8
        .value_kind:     by_value
      - .actual_access:  read_only
        .address_space:  global
        .offset:         40
        .size:           8
        .value_kind:     global_buffer
      - .actual_access:  read_only
        .address_space:  global
        .offset:         48
        .size:           8
        .value_kind:     global_buffer
      - .offset:         56
        .size:           4
        .value_kind:     by_value
      - .actual_access:  read_only
        .address_space:  global
        .offset:         64
        .size:           8
        .value_kind:     global_buffer
      - .actual_access:  read_only
        .address_space:  global
        .offset:         72
        .size:           8
        .value_kind:     global_buffer
      - .address_space:  global
        .offset:         80
        .size:           8
        .value_kind:     global_buffer
    .group_segment_fixed_size: 0
    .kernarg_segment_align: 8
    .kernarg_segment_size: 88
    .language:       OpenCL C
    .language_version:
      - 2
      - 0
    .max_flat_workgroup_size: 252
    .name:           fft_rtc_fwd_len42_factors_7_6_wgs_252_tpt_7_halfLds_dp_ip_CI_unitstride_sbrr_dirReg
    .private_segment_fixed_size: 0
    .sgpr_count:     26
    .sgpr_spill_count: 0
    .symbol:         fft_rtc_fwd_len42_factors_7_6_wgs_252_tpt_7_halfLds_dp_ip_CI_unitstride_sbrr_dirReg.kd
    .uniform_work_group_size: 1
    .uses_dynamic_stack: false
    .vgpr_count:     56
    .vgpr_spill_count: 0
    .wavefront_size: 64
amdhsa.target:   amdgcn-amd-amdhsa--gfx906
amdhsa.version:
  - 1
  - 2
...

	.end_amdgpu_metadata
